;; amdgpu-corpus repo=ROCm/aiter kind=compiled arch=gfx942 opt=O3
	.text
	.amdgcn_target "amdgcn-amd-amdhsa--gfx942"
	.amdhsa_code_object_version 6
	.protected	_Z22mma_step_k_bf16_kernelPKtS0_Ptiii ; -- Begin function _Z22mma_step_k_bf16_kernelPKtS0_Ptiii
	.globl	_Z22mma_step_k_bf16_kernelPKtS0_Ptiii
	.p2align	8
	.type	_Z22mma_step_k_bf16_kernelPKtS0_Ptiii,@function
_Z22mma_step_k_bf16_kernelPKtS0_Ptiii:  ; @_Z22mma_step_k_bf16_kernelPKtS0_Ptiii
; %bb.0:
	s_load_dwordx4 s[12:15], s[0:1], 0x0
	s_load_dwordx4 s[4:7], s[0:1], 0x18
	s_waitcnt lgkmcnt(0)
	s_lshl_b32 s7, s2, 5
	s_lshl_b32 s2, s3, 5
	v_and_b32_e32 v16, 31, v0
	v_bfe_u32 v17, v0, 5, 1
	s_mul_i32 s8, s7, s4
	s_ashr_i32 s9, s8, 31
	s_lshl_b64 s[8:9], s[8:9], 1
	s_add_u32 s8, s12, s8
	s_mul_i32 s12, s2, s5
	s_addc_u32 s3, s13, s9
	s_ashr_i32 s13, s12, 31
	s_and_b32 s9, s3, 0xffff
	s_lshl_b64 s[12:13], s[12:13], 1
	s_add_u32 s12, s14, s12
	v_lshlrev_b32_e32 v0, 3, v17
	v_mul_lo_u32 v1, v16, s5
	s_mov_b32 s11, 0x20000
	s_mov_b32 s10, -1
	s_addc_u32 s3, s15, s13
	s_and_b32 s13, s3, 0xffff
	s_mov_b32 s14, s10
	s_mov_b32 s15, s11
	v_add_lshl_u32 v38, v1, v0, 1
	buffer_load_dwordx4 v[18:21], v38, s[12:15], 0 offen
	v_mul_lo_u32 v1, v16, s4
	v_add_lshl_u32 v39, v1, v0, 1
	buffer_load_dwordx4 v[22:25], v39, s[8:11], 0 offen
	buffer_load_dwordx4 v[26:29], v38, s[12:15], 0 offen offset:32
	buffer_load_dwordx4 v[30:33], v39, s[8:11], 0 offen offset:32
	s_mov_b32 s3, 0x7f800000
	s_waitcnt vmcnt(2)
	v_mfma_f32_32x32x8_bf16 v[0:15], v[18:19], v[22:23], 0
	v_mfma_f32_32x32x8_bf16 v[0:15], v[20:21], v[24:25], v[0:15]
	buffer_load_dwordx4 v[18:21], v38, s[12:15], 0 offen offset:64
	buffer_load_dwordx4 v[22:25], v39, s[8:11], 0 offen offset:64
	buffer_load_dwordx4 v[34:37], v38, s[12:15], 0 offen offset:96
	s_waitcnt vmcnt(3)
	v_mfma_f32_32x32x8_bf16 v[0:15], v[26:27], v[30:31], v[0:15]
	v_mfma_f32_32x32x8_bf16 v[0:15], v[28:29], v[32:33], v[0:15]
	buffer_load_dwordx4 v[26:29], v39, s[8:11], 0 offen offset:96
	s_waitcnt vmcnt(2)
	v_mfma_f32_32x32x8_bf16 v[0:15], v[18:19], v[22:23], v[0:15]
	v_mfma_f32_32x32x8_bf16 v[0:15], v[20:21], v[24:25], v[0:15]
	buffer_load_dwordx4 v[18:21], v38, s[12:15], 0 offen offset:128
	buffer_load_dwordx4 v[22:25], v39, s[8:11], 0 offen offset:128
	buffer_load_dwordx4 v[30:33], v38, s[12:15], 0 offen offset:160
	s_waitcnt vmcnt(3)
	v_mfma_f32_32x32x8_bf16 v[0:15], v[34:35], v[26:27], v[0:15]
	v_mfma_f32_32x32x8_bf16 v[0:15], v[36:37], v[28:29], v[0:15]
	buffer_load_dwordx4 v[26:29], v39, s[8:11], 0 offen offset:160
	s_waitcnt vmcnt(2)
	v_mfma_f32_32x32x8_bf16 v[0:15], v[18:19], v[22:23], v[0:15]
	v_mfma_f32_32x32x8_bf16 v[0:15], v[20:21], v[24:25], v[0:15]
	buffer_load_dwordx4 v[18:21], v38, s[12:15], 0 offen offset:192
	buffer_load_dwordx4 v[22:25], v39, s[8:11], 0 offen offset:192
	buffer_load_dwordx4 v[34:37], v38, s[12:15], 0 offen offset:224
	s_waitcnt vmcnt(3)
	v_mfma_f32_32x32x8_bf16 v[0:15], v[30:31], v[26:27], v[0:15]
	v_mfma_f32_32x32x8_bf16 v[0:15], v[32:33], v[28:29], v[0:15]
	buffer_load_dwordx4 v[26:29], v39, s[8:11], 0 offen offset:224
	s_waitcnt vmcnt(2)
	v_mfma_f32_32x32x8_bf16 v[0:15], v[18:19], v[22:23], v[0:15]
	v_mfma_f32_32x32x8_bf16 v[0:15], v[20:21], v[24:25], v[0:15]
	s_waitcnt vmcnt(0)
	v_mfma_f32_32x32x8_bf16 v[0:15], v[34:35], v[26:27], v[0:15]
	v_mfma_f32_32x32x8_bf16 v[0:15], v[36:37], v[28:29], v[0:15]
	s_nop 7
	s_nop 2
	v_and_b32_e32 v18, 0x7f800000, v0
	v_cmp_ne_u32_e32 vcc, s3, v18
                                        ; implicit-def: $vgpr18
	s_and_saveexec_b64 s[4:5], vcc
	s_xor_b64 s[4:5], exec, s[4:5]
; %bb.1:
	v_bfe_u32 v18, v0, 16, 1
	s_movk_i32 s3, 0x7fff
	v_add3_u32 v18, v0, v18, s3
; %bb.2:
	s_andn2_saveexec_b64 s[4:5], s[4:5]
; %bb.3:
	v_mov_b32_e32 v18, 0
	v_or_b32_e32 v19, 0x10000, v0
	v_cmp_eq_u32_sdwa vcc, v0, v18 src0_sel:WORD_0 src1_sel:DWORD
	s_nop 1
	v_cndmask_b32_e32 v18, v19, v0, vcc
; %bb.4:
	s_or_b64 exec, exec, s[4:5]
	s_mov_b32 s3, 0x7f800000
	v_and_b32_e32 v0, 0x7f800000, v1
	v_cmp_ne_u32_e32 vcc, s3, v0
                                        ; implicit-def: $vgpr19
	s_and_saveexec_b64 s[4:5], vcc
	s_xor_b64 s[4:5], exec, s[4:5]
; %bb.5:
	v_bfe_u32 v0, v1, 16, 1
	s_movk_i32 s3, 0x7fff
	v_add3_u32 v19, v1, v0, s3
; %bb.6:
	s_andn2_saveexec_b64 s[4:5], s[4:5]
; %bb.7:
	v_mov_b32_e32 v0, 0
	v_or_b32_e32 v19, 0x10000, v1
	v_cmp_eq_u32_sdwa vcc, v1, v0 src0_sel:WORD_0 src1_sel:DWORD
	s_nop 1
	v_cndmask_b32_e32 v19, v19, v1, vcc
; %bb.8:
	s_or_b64 exec, exec, s[4:5]
	s_mov_b32 s3, 0x7f800000
	v_and_b32_e32 v0, 0x7f800000, v2
	v_cmp_ne_u32_e32 vcc, s3, v0
                                        ; implicit-def: $vgpr20
	s_and_saveexec_b64 s[4:5], vcc
	s_xor_b64 s[4:5], exec, s[4:5]
; %bb.9:
	v_bfe_u32 v0, v2, 16, 1
	s_movk_i32 s3, 0x7fff
	v_add3_u32 v20, v2, v0, s3
; %bb.10:
	s_andn2_saveexec_b64 s[4:5], s[4:5]
; %bb.11:
	v_mov_b32_e32 v0, 0
	v_or_b32_e32 v1, 0x10000, v2
	v_cmp_eq_u32_sdwa vcc, v2, v0 src0_sel:WORD_0 src1_sel:DWORD
	s_nop 1
	v_cndmask_b32_e32 v20, v1, v2, vcc
; %bb.12:
	s_or_b64 exec, exec, s[4:5]
	s_mov_b32 s3, 0x7f800000
	v_and_b32_e32 v0, 0x7f800000, v3
	v_cmp_ne_u32_e32 vcc, s3, v0
                                        ; implicit-def: $vgpr21
	s_and_saveexec_b64 s[4:5], vcc
	s_xor_b64 s[4:5], exec, s[4:5]
; %bb.13:
	v_bfe_u32 v0, v3, 16, 1
	s_movk_i32 s3, 0x7fff
	v_add3_u32 v21, v3, v0, s3
; %bb.14:
	s_andn2_saveexec_b64 s[4:5], s[4:5]
; %bb.15:
	v_mov_b32_e32 v0, 0
	v_or_b32_e32 v1, 0x10000, v3
	v_cmp_eq_u32_sdwa vcc, v3, v0 src0_sel:WORD_0 src1_sel:DWORD
	s_nop 1
	v_cndmask_b32_e32 v21, v1, v3, vcc
; %bb.16:
	s_or_b64 exec, exec, s[4:5]
	s_mov_b32 s3, 0x7f800000
	v_and_b32_e32 v0, 0x7f800000, v4
	v_cmp_ne_u32_e32 vcc, s3, v0
                                        ; implicit-def: $vgpr22
	s_and_saveexec_b64 s[4:5], vcc
	s_xor_b64 s[4:5], exec, s[4:5]
; %bb.17:
	v_bfe_u32 v0, v4, 16, 1
	s_movk_i32 s3, 0x7fff
	v_add3_u32 v22, v4, v0, s3
; %bb.18:
	s_andn2_saveexec_b64 s[4:5], s[4:5]
; %bb.19:
	v_mov_b32_e32 v0, 0
	v_or_b32_e32 v1, 0x10000, v4
	v_cmp_eq_u32_sdwa vcc, v4, v0 src0_sel:WORD_0 src1_sel:DWORD
	s_nop 1
	v_cndmask_b32_e32 v22, v1, v4, vcc
; %bb.20:
	s_or_b64 exec, exec, s[4:5]
	s_mov_b32 s3, 0x7f800000
	v_and_b32_e32 v0, 0x7f800000, v5
	v_cmp_ne_u32_e32 vcc, s3, v0
                                        ; implicit-def: $vgpr23
	s_and_saveexec_b64 s[4:5], vcc
	s_xor_b64 s[4:5], exec, s[4:5]
; %bb.21:
	v_bfe_u32 v0, v5, 16, 1
	s_movk_i32 s3, 0x7fff
	v_add3_u32 v23, v5, v0, s3
; %bb.22:
	s_andn2_saveexec_b64 s[4:5], s[4:5]
; %bb.23:
	v_mov_b32_e32 v0, 0
	v_or_b32_e32 v1, 0x10000, v5
	v_cmp_eq_u32_sdwa vcc, v5, v0 src0_sel:WORD_0 src1_sel:DWORD
	s_nop 1
	v_cndmask_b32_e32 v23, v1, v5, vcc
; %bb.24:
	s_or_b64 exec, exec, s[4:5]
	s_mov_b32 s3, 0x7f800000
	v_and_b32_e32 v0, 0x7f800000, v6
	v_cmp_ne_u32_e32 vcc, s3, v0
                                        ; implicit-def: $vgpr24
	s_and_saveexec_b64 s[4:5], vcc
	s_xor_b64 s[4:5], exec, s[4:5]
; %bb.25:
	v_bfe_u32 v0, v6, 16, 1
	s_movk_i32 s3, 0x7fff
	v_add3_u32 v24, v6, v0, s3
; %bb.26:
	s_andn2_saveexec_b64 s[4:5], s[4:5]
; %bb.27:
	v_mov_b32_e32 v0, 0
	v_or_b32_e32 v1, 0x10000, v6
	v_cmp_eq_u32_sdwa vcc, v6, v0 src0_sel:WORD_0 src1_sel:DWORD
	s_nop 1
	v_cndmask_b32_e32 v24, v1, v6, vcc
; %bb.28:
	s_or_b64 exec, exec, s[4:5]
	s_mov_b32 s3, 0x7f800000
	v_and_b32_e32 v0, 0x7f800000, v7
	v_cmp_ne_u32_e32 vcc, s3, v0
                                        ; implicit-def: $vgpr25
	s_and_saveexec_b64 s[4:5], vcc
	s_xor_b64 s[4:5], exec, s[4:5]
; %bb.29:
	v_bfe_u32 v0, v7, 16, 1
	s_movk_i32 s3, 0x7fff
	v_add3_u32 v25, v7, v0, s3
; %bb.30:
	s_andn2_saveexec_b64 s[4:5], s[4:5]
; %bb.31:
	v_mov_b32_e32 v0, 0
	v_or_b32_e32 v1, 0x10000, v7
	v_cmp_eq_u32_sdwa vcc, v7, v0 src0_sel:WORD_0 src1_sel:DWORD
	s_nop 1
	v_cndmask_b32_e32 v25, v1, v7, vcc
; %bb.32:
	s_or_b64 exec, exec, s[4:5]
	s_mov_b32 s3, 0x7f800000
	v_and_b32_e32 v0, 0x7f800000, v8
	v_cmp_ne_u32_e32 vcc, s3, v0
                                        ; implicit-def: $vgpr26
	s_and_saveexec_b64 s[4:5], vcc
	s_xor_b64 s[4:5], exec, s[4:5]
; %bb.33:
	v_bfe_u32 v0, v8, 16, 1
	s_movk_i32 s3, 0x7fff
	v_add3_u32 v26, v8, v0, s3
; %bb.34:
	s_andn2_saveexec_b64 s[4:5], s[4:5]
; %bb.35:
	v_mov_b32_e32 v0, 0
	v_or_b32_e32 v1, 0x10000, v8
	v_cmp_eq_u32_sdwa vcc, v8, v0 src0_sel:WORD_0 src1_sel:DWORD
	s_nop 1
	v_cndmask_b32_e32 v26, v1, v8, vcc
; %bb.36:
	s_or_b64 exec, exec, s[4:5]
	s_mov_b32 s3, 0x7f800000
	v_and_b32_e32 v0, 0x7f800000, v9
	v_cmp_ne_u32_e32 vcc, s3, v0
                                        ; implicit-def: $vgpr27
	s_and_saveexec_b64 s[4:5], vcc
	s_xor_b64 s[4:5], exec, s[4:5]
; %bb.37:
	v_bfe_u32 v0, v9, 16, 1
	s_movk_i32 s3, 0x7fff
	v_add3_u32 v27, v9, v0, s3
; %bb.38:
	s_andn2_saveexec_b64 s[4:5], s[4:5]
; %bb.39:
	v_mov_b32_e32 v0, 0
	v_or_b32_e32 v1, 0x10000, v9
	v_cmp_eq_u32_sdwa vcc, v9, v0 src0_sel:WORD_0 src1_sel:DWORD
	s_nop 1
	v_cndmask_b32_e32 v27, v1, v9, vcc
; %bb.40:
	s_or_b64 exec, exec, s[4:5]
	s_mov_b32 s3, 0x7f800000
	v_and_b32_e32 v0, 0x7f800000, v10
	v_cmp_ne_u32_e32 vcc, s3, v0
                                        ; implicit-def: $vgpr28
	s_and_saveexec_b64 s[4:5], vcc
	s_xor_b64 s[4:5], exec, s[4:5]
; %bb.41:
	v_bfe_u32 v0, v10, 16, 1
	s_movk_i32 s3, 0x7fff
	v_add3_u32 v28, v10, v0, s3
; %bb.42:
	s_andn2_saveexec_b64 s[4:5], s[4:5]
; %bb.43:
	v_mov_b32_e32 v0, 0
	v_or_b32_e32 v1, 0x10000, v10
	v_cmp_eq_u32_sdwa vcc, v10, v0 src0_sel:WORD_0 src1_sel:DWORD
	s_nop 1
	v_cndmask_b32_e32 v28, v1, v10, vcc
; %bb.44:
	s_or_b64 exec, exec, s[4:5]
	s_mov_b32 s3, 0x7f800000
	v_and_b32_e32 v0, 0x7f800000, v11
	v_cmp_ne_u32_e32 vcc, s3, v0
                                        ; implicit-def: $vgpr29
	s_and_saveexec_b64 s[4:5], vcc
	s_xor_b64 s[4:5], exec, s[4:5]
; %bb.45:
	v_bfe_u32 v0, v11, 16, 1
	s_movk_i32 s3, 0x7fff
	v_add3_u32 v29, v11, v0, s3
; %bb.46:
	s_andn2_saveexec_b64 s[4:5], s[4:5]
; %bb.47:
	v_mov_b32_e32 v0, 0
	v_or_b32_e32 v1, 0x10000, v11
	v_cmp_eq_u32_sdwa vcc, v11, v0 src0_sel:WORD_0 src1_sel:DWORD
	s_nop 1
	v_cndmask_b32_e32 v29, v1, v11, vcc
; %bb.48:
	s_or_b64 exec, exec, s[4:5]
	s_mov_b32 s3, 0x7f800000
	v_and_b32_e32 v0, 0x7f800000, v12
	v_cmp_ne_u32_e32 vcc, s3, v0
                                        ; implicit-def: $vgpr30
	s_and_saveexec_b64 s[4:5], vcc
	s_xor_b64 s[4:5], exec, s[4:5]
; %bb.49:
	v_bfe_u32 v0, v12, 16, 1
	s_movk_i32 s3, 0x7fff
	v_add3_u32 v30, v12, v0, s3
; %bb.50:
	s_andn2_saveexec_b64 s[4:5], s[4:5]
; %bb.51:
	v_mov_b32_e32 v0, 0
	v_or_b32_e32 v1, 0x10000, v12
	v_cmp_eq_u32_sdwa vcc, v12, v0 src0_sel:WORD_0 src1_sel:DWORD
	s_nop 1
	v_cndmask_b32_e32 v30, v1, v12, vcc
; %bb.52:
	s_or_b64 exec, exec, s[4:5]
	s_mov_b32 s3, 0x7f800000
	v_and_b32_e32 v0, 0x7f800000, v13
	v_cmp_ne_u32_e32 vcc, s3, v0
                                        ; implicit-def: $vgpr31
	s_and_saveexec_b64 s[4:5], vcc
	s_xor_b64 s[4:5], exec, s[4:5]
; %bb.53:
	v_bfe_u32 v0, v13, 16, 1
	s_movk_i32 s3, 0x7fff
	v_add3_u32 v31, v13, v0, s3
; %bb.54:
	s_andn2_saveexec_b64 s[4:5], s[4:5]
; %bb.55:
	v_mov_b32_e32 v0, 0
	v_or_b32_e32 v1, 0x10000, v13
	v_cmp_eq_u32_sdwa vcc, v13, v0 src0_sel:WORD_0 src1_sel:DWORD
	s_nop 1
	v_cndmask_b32_e32 v31, v1, v13, vcc
; %bb.56:
	s_or_b64 exec, exec, s[4:5]
	s_mov_b32 s3, 0x7f800000
	v_and_b32_e32 v0, 0x7f800000, v14
	v_cmp_ne_u32_e32 vcc, s3, v0
                                        ; implicit-def: $vgpr32
	s_and_saveexec_b64 s[4:5], vcc
	s_xor_b64 s[4:5], exec, s[4:5]
; %bb.57:
	v_bfe_u32 v0, v14, 16, 1
	s_movk_i32 s3, 0x7fff
	v_add3_u32 v32, v14, v0, s3
; %bb.58:
	s_andn2_saveexec_b64 s[4:5], s[4:5]
; %bb.59:
	v_mov_b32_e32 v0, 0
	v_or_b32_e32 v1, 0x10000, v14
	v_cmp_eq_u32_sdwa vcc, v14, v0 src0_sel:WORD_0 src1_sel:DWORD
	s_nop 1
	v_cndmask_b32_e32 v32, v1, v14, vcc
; %bb.60:
	s_or_b64 exec, exec, s[4:5]
	s_load_dwordx2 s[0:1], s[0:1], 0x10
	s_mov_b32 s3, 0x7f800000
	v_and_b32_e32 v0, 0x7f800000, v15
	v_cmp_ne_u32_e32 vcc, s3, v0
                                        ; implicit-def: $vgpr33
	s_and_saveexec_b64 s[4:5], vcc
	s_xor_b64 s[4:5], exec, s[4:5]
; %bb.61:
	v_bfe_u32 v0, v15, 16, 1
	s_movk_i32 s3, 0x7fff
	v_add3_u32 v33, v15, v0, s3
                                        ; implicit-def: $vgpr0_vgpr1_vgpr2_vgpr3_vgpr4_vgpr5_vgpr6_vgpr7_vgpr8_vgpr9_vgpr10_vgpr11_vgpr12_vgpr13_vgpr14_vgpr15
; %bb.62:
	s_andn2_saveexec_b64 s[4:5], s[4:5]
; %bb.63:
	v_mov_b32_e32 v0, 0
	v_or_b32_e32 v1, 0x10000, v15
	v_cmp_eq_u32_sdwa vcc, v15, v0 src0_sel:WORD_0 src1_sel:DWORD
	s_nop 1
	v_cndmask_b32_e32 v33, v1, v15, vcc
; %bb.64:
	s_or_b64 exec, exec, s[4:5]
	s_mul_i32 s4, s7, s6
	s_ashr_i32 s5, s4, 31
	s_lshl_b64 s[4:5], s[4:5], 1
	s_waitcnt lgkmcnt(0)
	s_add_u32 s4, s0, s4
	s_addc_u32 s5, s1, s5
	s_ashr_i32 s3, s2, 31
	s_lshl_b64 s[0:1], s[2:3], 1
	s_add_u32 s0, s4, s0
	s_addc_u32 s1, s5, s1
	s_mov_b32 s4, 0x7060302
	v_mul_lo_u32 v8, v16, s6
	v_lshlrev_b32_e32 v9, 2, v17
	s_and_b32 s1, s1, 0xffff
	s_mov_b32 s3, 0x20000
	s_mov_b32 s2, -1
	v_perm_b32 v1, v21, v20, s4
	v_perm_b32 v0, v19, v18, s4
	v_add_lshl_u32 v8, v8, v9, 1
	v_perm_b32 v3, v25, v24, s4
	v_perm_b32 v2, v23, v22, s4
	;; [unrolled: 1-line block ×6, first 2 shown]
	buffer_store_dwordx2 v[0:1], v8, s[0:3], 0 offen
	buffer_store_dwordx2 v[2:3], v8, s[0:3], 0 offen offset:16
	buffer_store_dwordx2 v[4:5], v8, s[0:3], 0 offen offset:32
	;; [unrolled: 1-line block ×3, first 2 shown]
	s_endpgm
	.section	.rodata,"a",@progbits
	.p2align	6, 0x0
	.amdhsa_kernel _Z22mma_step_k_bf16_kernelPKtS0_Ptiii
		.amdhsa_group_segment_fixed_size 0
		.amdhsa_private_segment_fixed_size 0
		.amdhsa_kernarg_size 36
		.amdhsa_user_sgpr_count 2
		.amdhsa_user_sgpr_dispatch_ptr 0
		.amdhsa_user_sgpr_queue_ptr 0
		.amdhsa_user_sgpr_kernarg_segment_ptr 1
		.amdhsa_user_sgpr_dispatch_id 0
		.amdhsa_user_sgpr_kernarg_preload_length 0
		.amdhsa_user_sgpr_kernarg_preload_offset 0
		.amdhsa_user_sgpr_private_segment_size 0
		.amdhsa_uses_dynamic_stack 0
		.amdhsa_enable_private_segment 0
		.amdhsa_system_sgpr_workgroup_id_x 1
		.amdhsa_system_sgpr_workgroup_id_y 1
		.amdhsa_system_sgpr_workgroup_id_z 0
		.amdhsa_system_sgpr_workgroup_info 0
		.amdhsa_system_vgpr_workitem_id 0
		.amdhsa_next_free_vgpr 40
		.amdhsa_next_free_sgpr 16
		.amdhsa_accum_offset 40
		.amdhsa_reserve_vcc 1
		.amdhsa_float_round_mode_32 0
		.amdhsa_float_round_mode_16_64 0
		.amdhsa_float_denorm_mode_32 3
		.amdhsa_float_denorm_mode_16_64 3
		.amdhsa_dx10_clamp 1
		.amdhsa_ieee_mode 1
		.amdhsa_fp16_overflow 0
		.amdhsa_tg_split 0
		.amdhsa_exception_fp_ieee_invalid_op 0
		.amdhsa_exception_fp_denorm_src 0
		.amdhsa_exception_fp_ieee_div_zero 0
		.amdhsa_exception_fp_ieee_overflow 0
		.amdhsa_exception_fp_ieee_underflow 0
		.amdhsa_exception_fp_ieee_inexact 0
		.amdhsa_exception_int_div_zero 0
	.end_amdhsa_kernel
	.text
.Lfunc_end0:
	.size	_Z22mma_step_k_bf16_kernelPKtS0_Ptiii, .Lfunc_end0-_Z22mma_step_k_bf16_kernelPKtS0_Ptiii
                                        ; -- End function
	.section	.AMDGPU.csdata,"",@progbits
; Kernel info:
; codeLenInByte = 1988
; NumSgprs: 22
; NumVgprs: 40
; NumAgprs: 0
; TotalNumVgprs: 40
; ScratchSize: 0
; MemoryBound: 0
; FloatMode: 240
; IeeeMode: 1
; LDSByteSize: 0 bytes/workgroup (compile time only)
; SGPRBlocks: 2
; VGPRBlocks: 4
; NumSGPRsForWavesPerEU: 22
; NumVGPRsForWavesPerEU: 40
; AccumOffset: 40
; Occupancy: 8
; WaveLimiterHint : 0
; COMPUTE_PGM_RSRC2:SCRATCH_EN: 0
; COMPUTE_PGM_RSRC2:USER_SGPR: 2
; COMPUTE_PGM_RSRC2:TRAP_HANDLER: 0
; COMPUTE_PGM_RSRC2:TGID_X_EN: 1
; COMPUTE_PGM_RSRC2:TGID_Y_EN: 1
; COMPUTE_PGM_RSRC2:TGID_Z_EN: 0
; COMPUTE_PGM_RSRC2:TIDIG_COMP_CNT: 0
; COMPUTE_PGM_RSRC3_GFX90A:ACCUM_OFFSET: 9
; COMPUTE_PGM_RSRC3_GFX90A:TG_SPLIT: 0
	.text
	.p2alignl 6, 3212836864
	.fill 256, 4, 3212836864
	.type	__hip_cuid_d92a4dec4c923aaf,@object ; @__hip_cuid_d92a4dec4c923aaf
	.section	.bss,"aw",@nobits
	.globl	__hip_cuid_d92a4dec4c923aaf
__hip_cuid_d92a4dec4c923aaf:
	.byte	0                               ; 0x0
	.size	__hip_cuid_d92a4dec4c923aaf, 1

	.ident	"AMD clang version 19.0.0git (https://github.com/RadeonOpenCompute/llvm-project roc-6.4.0 25133 c7fe45cf4b819c5991fe208aaa96edf142730f1d)"
	.section	".note.GNU-stack","",@progbits
	.addrsig
	.addrsig_sym __hip_cuid_d92a4dec4c923aaf
	.amdgpu_metadata
---
amdhsa.kernels:
  - .agpr_count:     0
    .args:
      - .actual_access:  read_only
        .address_space:  global
        .offset:         0
        .size:           8
        .value_kind:     global_buffer
      - .actual_access:  read_only
        .address_space:  global
        .offset:         8
        .size:           8
        .value_kind:     global_buffer
      - .actual_access:  write_only
        .address_space:  global
        .offset:         16
        .size:           8
        .value_kind:     global_buffer
      - .offset:         24
        .size:           4
        .value_kind:     by_value
      - .offset:         28
        .size:           4
        .value_kind:     by_value
      - .offset:         32
        .size:           4
        .value_kind:     by_value
    .group_segment_fixed_size: 0
    .kernarg_segment_align: 8
    .kernarg_segment_size: 36
    .language:       OpenCL C
    .language_version:
      - 2
      - 0
    .max_flat_workgroup_size: 1024
    .name:           _Z22mma_step_k_bf16_kernelPKtS0_Ptiii
    .private_segment_fixed_size: 0
    .sgpr_count:     22
    .sgpr_spill_count: 0
    .symbol:         _Z22mma_step_k_bf16_kernelPKtS0_Ptiii.kd
    .uniform_work_group_size: 1
    .uses_dynamic_stack: false
    .vgpr_count:     40
    .vgpr_spill_count: 0
    .wavefront_size: 64
amdhsa.target:   amdgcn-amd-amdhsa--gfx942
amdhsa.version:
  - 1
  - 2
...

	.end_amdgpu_metadata
